;; amdgpu-corpus repo=ROCm/rocFFT kind=compiled arch=gfx950 opt=O3
	.text
	.amdgcn_target "amdgcn-amd-amdhsa--gfx950"
	.amdhsa_code_object_version 6
	.protected	fft_rtc_back_len4096_factors_16_16_16_wgs_256_tpt_256_halfLds_half_op_CI_CI_unitstride_sbrr_R2C_dirReg ; -- Begin function fft_rtc_back_len4096_factors_16_16_16_wgs_256_tpt_256_halfLds_half_op_CI_CI_unitstride_sbrr_R2C_dirReg
	.globl	fft_rtc_back_len4096_factors_16_16_16_wgs_256_tpt_256_halfLds_half_op_CI_CI_unitstride_sbrr_R2C_dirReg
	.p2align	8
	.type	fft_rtc_back_len4096_factors_16_16_16_wgs_256_tpt_256_halfLds_half_op_CI_CI_unitstride_sbrr_R2C_dirReg,@function
fft_rtc_back_len4096_factors_16_16_16_wgs_256_tpt_256_halfLds_half_op_CI_CI_unitstride_sbrr_R2C_dirReg: ; @fft_rtc_back_len4096_factors_16_16_16_wgs_256_tpt_256_halfLds_half_op_CI_CI_unitstride_sbrr_R2C_dirReg
; %bb.0:
	s_load_dwordx4 s[4:7], s[0:1], 0x58
	s_load_dwordx4 s[8:11], s[0:1], 0x0
	;; [unrolled: 1-line block ×3, first 2 shown]
	v_mov_b32_e32 v8, s2
	v_mov_b32_e32 v6, 0
	v_mov_b32_e32 v9, v6
	s_waitcnt lgkmcnt(0)
	v_cmp_lt_u64_e64 s[2:3], s[10:11], 2
	s_and_b64 vcc, exec, s[2:3]
	v_mov_b64_e32 v[20:21], 0
	s_cbranch_vccnz .LBB0_8
; %bb.1:
	s_load_dwordx2 s[2:3], s[0:1], 0x10
	s_add_u32 s16, s14, 8
	s_addc_u32 s17, s15, 0
	s_add_u32 s18, s12, 8
	s_addc_u32 s19, s13, 0
	s_waitcnt lgkmcnt(0)
	s_add_u32 s20, s2, 8
	v_mov_b64_e32 v[20:21], 0
	s_addc_u32 s21, s3, 0
	s_mov_b64 s[22:23], 1
	v_mov_b64_e32 v[2:3], v[20:21]
.LBB0_2:                                ; =>This Inner Loop Header: Depth=1
	s_load_dwordx2 s[24:25], s[20:21], 0x0
                                        ; implicit-def: $vgpr4_vgpr5
	s_waitcnt lgkmcnt(0)
	v_or_b32_e32 v7, s25, v9
	v_cmp_ne_u64_e32 vcc, 0, v[6:7]
	s_and_saveexec_b64 s[2:3], vcc
	s_xor_b64 s[26:27], exec, s[2:3]
	s_cbranch_execz .LBB0_4
; %bb.3:                                ;   in Loop: Header=BB0_2 Depth=1
	v_cvt_f32_u32_e32 v1, s24
	v_cvt_f32_u32_e32 v4, s25
	s_sub_u32 s2, 0, s24
	s_subb_u32 s3, 0, s25
	v_fmac_f32_e32 v1, 0x4f800000, v4
	v_rcp_f32_e32 v1, v1
	s_nop 0
	v_mul_f32_e32 v1, 0x5f7ffffc, v1
	v_mul_f32_e32 v4, 0x2f800000, v1
	v_trunc_f32_e32 v4, v4
	v_fmac_f32_e32 v1, 0xcf800000, v4
	v_cvt_u32_f32_e32 v7, v4
	v_cvt_u32_f32_e32 v1, v1
	v_mul_lo_u32 v4, s2, v7
	v_mul_hi_u32 v10, s2, v1
	v_mul_lo_u32 v5, s3, v1
	v_add_u32_e32 v10, v10, v4
	v_mul_lo_u32 v12, s2, v1
	v_add_u32_e32 v13, v10, v5
	v_mul_hi_u32 v4, v1, v12
	v_mul_hi_u32 v11, v1, v13
	v_mul_lo_u32 v10, v1, v13
	v_mov_b32_e32 v5, v6
	v_lshl_add_u64 v[4:5], v[4:5], 0, v[10:11]
	v_mul_hi_u32 v11, v7, v12
	v_mul_lo_u32 v12, v7, v12
	v_add_co_u32_e32 v4, vcc, v4, v12
	v_mul_hi_u32 v10, v7, v13
	s_nop 0
	v_addc_co_u32_e32 v4, vcc, v5, v11, vcc
	v_mov_b32_e32 v5, v6
	s_nop 0
	v_addc_co_u32_e32 v11, vcc, 0, v10, vcc
	v_mul_lo_u32 v10, v7, v13
	v_lshl_add_u64 v[4:5], v[4:5], 0, v[10:11]
	v_add_co_u32_e32 v1, vcc, v1, v4
	v_mul_lo_u32 v10, s2, v1
	s_nop 0
	v_addc_co_u32_e32 v7, vcc, v7, v5, vcc
	v_mul_lo_u32 v4, s2, v7
	v_mul_hi_u32 v5, s2, v1
	v_add_u32_e32 v4, v5, v4
	v_mul_lo_u32 v5, s3, v1
	v_add_u32_e32 v12, v4, v5
	v_mul_hi_u32 v14, v7, v10
	v_mul_lo_u32 v15, v7, v10
	v_mul_hi_u32 v5, v1, v12
	v_mul_lo_u32 v4, v1, v12
	v_mul_hi_u32 v10, v1, v10
	v_mov_b32_e32 v11, v6
	v_lshl_add_u64 v[4:5], v[10:11], 0, v[4:5]
	v_add_co_u32_e32 v4, vcc, v4, v15
	v_mul_hi_u32 v13, v7, v12
	s_nop 0
	v_addc_co_u32_e32 v4, vcc, v5, v14, vcc
	v_mul_lo_u32 v10, v7, v12
	s_nop 0
	v_addc_co_u32_e32 v11, vcc, 0, v13, vcc
	v_mov_b32_e32 v5, v6
	v_lshl_add_u64 v[4:5], v[4:5], 0, v[10:11]
	v_add_co_u32_e32 v1, vcc, v1, v4
	v_mul_hi_u32 v10, v8, v1
	s_nop 0
	v_addc_co_u32_e32 v7, vcc, v7, v5, vcc
	v_mad_u64_u32 v[4:5], s[2:3], v8, v7, 0
	v_mov_b32_e32 v11, v6
	v_lshl_add_u64 v[4:5], v[10:11], 0, v[4:5]
	v_mad_u64_u32 v[12:13], s[2:3], v9, v1, 0
	v_add_co_u32_e32 v1, vcc, v4, v12
	v_mad_u64_u32 v[10:11], s[2:3], v9, v7, 0
	s_nop 0
	v_addc_co_u32_e32 v4, vcc, v5, v13, vcc
	v_mov_b32_e32 v5, v6
	s_nop 0
	v_addc_co_u32_e32 v11, vcc, 0, v11, vcc
	v_lshl_add_u64 v[4:5], v[4:5], 0, v[10:11]
	v_mul_lo_u32 v1, s25, v4
	v_mul_lo_u32 v7, s24, v5
	v_mad_u64_u32 v[10:11], s[2:3], s24, v4, 0
	v_add3_u32 v1, v11, v7, v1
	v_sub_u32_e32 v7, v9, v1
	v_mov_b32_e32 v11, s25
	v_sub_co_u32_e32 v14, vcc, v8, v10
	v_lshl_add_u64 v[12:13], v[4:5], 0, 1
	s_nop 0
	v_subb_co_u32_e64 v7, s[2:3], v7, v11, vcc
	v_subrev_co_u32_e64 v10, s[2:3], s24, v14
	v_subb_co_u32_e32 v1, vcc, v9, v1, vcc
	s_nop 0
	v_subbrev_co_u32_e64 v7, s[2:3], 0, v7, s[2:3]
	v_cmp_le_u32_e64 s[2:3], s25, v7
	v_cmp_le_u32_e32 vcc, s25, v1
	s_nop 0
	v_cndmask_b32_e64 v11, 0, -1, s[2:3]
	v_cmp_le_u32_e64 s[2:3], s24, v10
	s_nop 1
	v_cndmask_b32_e64 v10, 0, -1, s[2:3]
	v_cmp_eq_u32_e64 s[2:3], s25, v7
	s_nop 1
	v_cndmask_b32_e64 v7, v11, v10, s[2:3]
	v_lshl_add_u64 v[10:11], v[4:5], 0, 2
	v_cmp_ne_u32_e64 s[2:3], 0, v7
	s_nop 1
	v_cndmask_b32_e64 v7, v13, v11, s[2:3]
	v_cndmask_b32_e64 v11, 0, -1, vcc
	v_cmp_le_u32_e32 vcc, s24, v14
	s_nop 1
	v_cndmask_b32_e64 v13, 0, -1, vcc
	v_cmp_eq_u32_e32 vcc, s25, v1
	s_nop 1
	v_cndmask_b32_e32 v1, v11, v13, vcc
	v_cmp_ne_u32_e32 vcc, 0, v1
	v_cndmask_b32_e64 v1, v12, v10, s[2:3]
	s_nop 0
	v_cndmask_b32_e32 v5, v5, v7, vcc
	v_cndmask_b32_e32 v4, v4, v1, vcc
.LBB0_4:                                ;   in Loop: Header=BB0_2 Depth=1
	s_andn2_saveexec_b64 s[2:3], s[26:27]
	s_cbranch_execz .LBB0_6
; %bb.5:                                ;   in Loop: Header=BB0_2 Depth=1
	v_cvt_f32_u32_e32 v1, s24
	s_sub_i32 s26, 0, s24
	v_rcp_iflag_f32_e32 v1, v1
	s_nop 0
	v_mul_f32_e32 v1, 0x4f7ffffe, v1
	v_cvt_u32_f32_e32 v1, v1
	v_mul_lo_u32 v4, s26, v1
	v_mul_hi_u32 v4, v1, v4
	v_add_u32_e32 v1, v1, v4
	v_mul_hi_u32 v1, v8, v1
	v_mul_lo_u32 v4, v1, s24
	v_sub_u32_e32 v4, v8, v4
	v_add_u32_e32 v5, 1, v1
	v_subrev_u32_e32 v7, s24, v4
	v_cmp_le_u32_e32 vcc, s24, v4
	s_nop 1
	v_cndmask_b32_e32 v4, v4, v7, vcc
	v_cndmask_b32_e32 v1, v1, v5, vcc
	v_add_u32_e32 v5, 1, v1
	v_cmp_le_u32_e32 vcc, s24, v4
	s_nop 1
	v_cndmask_b32_e32 v4, v1, v5, vcc
	v_mov_b32_e32 v5, v6
.LBB0_6:                                ;   in Loop: Header=BB0_2 Depth=1
	s_or_b64 exec, exec, s[2:3]
	v_mad_u64_u32 v[10:11], s[2:3], v4, s24, 0
	s_load_dwordx2 s[2:3], s[18:19], 0x0
	v_mul_lo_u32 v1, v5, s24
	v_mul_lo_u32 v7, v4, s25
	s_load_dwordx2 s[24:25], s[16:17], 0x0
	s_add_u32 s22, s22, 1
	v_add3_u32 v1, v11, v7, v1
	v_sub_co_u32_e32 v7, vcc, v8, v10
	s_addc_u32 s23, s23, 0
	s_nop 0
	v_subb_co_u32_e32 v1, vcc, v9, v1, vcc
	s_add_u32 s16, s16, 8
	s_waitcnt lgkmcnt(0)
	v_mul_lo_u32 v8, s2, v1
	v_mul_lo_u32 v9, s3, v7
	v_mad_u64_u32 v[20:21], s[2:3], s2, v7, v[20:21]
	s_addc_u32 s17, s17, 0
	v_add3_u32 v21, v9, v21, v8
	v_mul_lo_u32 v1, s24, v1
	v_mul_lo_u32 v8, s25, v7
	v_mad_u64_u32 v[2:3], s[2:3], s24, v7, v[2:3]
	s_add_u32 s18, s18, 8
	v_add3_u32 v3, v8, v3, v1
	s_addc_u32 s19, s19, 0
	v_mov_b64_e32 v[8:9], s[10:11]
	s_add_u32 s20, s20, 8
	v_cmp_ge_u64_e32 vcc, s[22:23], v[8:9]
	s_addc_u32 s21, s21, 0
	s_cbranch_vccnz .LBB0_9
; %bb.7:                                ;   in Loop: Header=BB0_2 Depth=1
	v_mov_b64_e32 v[8:9], v[4:5]
	s_branch .LBB0_2
.LBB0_8:
	v_mov_b64_e32 v[2:3], v[20:21]
	v_mov_b64_e32 v[4:5], v[8:9]
.LBB0_9:
	s_load_dwordx2 s[0:1], s[0:1], 0x28
	s_lshl_b64 s[10:11], s[10:11], 3
	s_add_u32 s2, s14, s10
	s_addc_u32 s3, s15, s11
                                        ; implicit-def: $vgpr6
                                        ; implicit-def: $vgpr18
                                        ; implicit-def: $vgpr16
                                        ; implicit-def: $vgpr8
                                        ; implicit-def: $vgpr10
                                        ; implicit-def: $vgpr12
                                        ; implicit-def: $vgpr14
                                        ; implicit-def: $vgpr1
                                        ; implicit-def: $vgpr7
                                        ; implicit-def: $vgpr9
                                        ; implicit-def: $vgpr11
                                        ; implicit-def: $vgpr13
                                        ; implicit-def: $vgpr15
                                        ; implicit-def: $vgpr17
                                        ; implicit-def: $vgpr19
	s_waitcnt lgkmcnt(0)
	v_cmp_gt_u64_e32 vcc, s[0:1], v[4:5]
	v_cmp_le_u64_e64 s[0:1], s[0:1], v[4:5]
	s_and_saveexec_b64 s[14:15], s[0:1]
	s_xor_b64 s[0:1], exec, s[14:15]
	s_cbranch_execz .LBB0_11
; %bb.10:
	v_or_b32_e32 v6, 0x100, v0
	v_or_b32_e32 v18, 0x200, v0
	v_or_b32_e32 v16, 0x300, v0
	v_or_b32_e32 v8, 0x400, v0
	v_or_b32_e32 v10, 0x500, v0
	v_or_b32_e32 v12, 0x600, v0
	v_or_b32_e32 v14, 0x700, v0
	v_or_b32_e32 v1, 0x800, v0
	v_or_b32_e32 v7, 0x900, v0
	v_or_b32_e32 v9, 0xa00, v0
	v_or_b32_e32 v11, 0xb00, v0
	v_or_b32_e32 v13, 0xc00, v0
	v_or_b32_e32 v15, 0xd00, v0
	v_or_b32_e32 v17, 0xe00, v0
	v_or_b32_e32 v19, 0xf00, v0
                                        ; implicit-def: $vgpr20_vgpr21
.LBB0_11:
	s_andn2_saveexec_b64 s[0:1], s[0:1]
	s_cbranch_execz .LBB0_13
; %bb.12:
	s_add_u32 s10, s12, s10
	s_addc_u32 s11, s13, s11
	s_load_dwordx2 s[10:11], s[10:11], 0x0
	v_lshlrev_b32_e32 v22, 2, v0
	v_mov_b32_e32 v23, 0
	v_or_b32_e32 v16, 0x300, v0
	v_add_u32_e32 v38, 0, v22
	s_waitcnt lgkmcnt(0)
	v_mul_lo_u32 v1, s11, v4
	v_mul_lo_u32 v8, s10, v5
	v_mad_u64_u32 v[6:7], s[10:11], s10, v4, 0
	v_add3_u32 v7, v7, v8, v1
	v_lshl_add_u64 v[6:7], v[6:7], 2, s[4:5]
	v_lshl_add_u64 v[20:21], v[20:21], 2, v[6:7]
	;; [unrolled: 1-line block ×3, first 2 shown]
	v_lshlrev_b32_e32 v22, 2, v16
	v_or_b32_e32 v8, 0x400, v0
	v_lshl_add_u64 v[18:19], v[20:21], 0, v[22:23]
	v_add_u32_e32 v39, 0, v22
	v_lshlrev_b32_e32 v22, 2, v8
	v_or_b32_e32 v10, 0x500, v0
	v_lshl_add_u64 v[24:25], v[20:21], 0, v[22:23]
	v_lshlrev_b32_e32 v22, 2, v10
	v_or_b32_e32 v12, 0x600, v0
	v_lshl_add_u64 v[26:27], v[20:21], 0, v[22:23]
	;; [unrolled: 3-line block ×4, first 2 shown]
	global_load_dword v40, v[6:7], off
	global_load_dword v41, v[6:7], off offset:1024
	global_load_dword v42, v[6:7], off offset:2048
	global_load_dword v43, v[18:19], off
	global_load_dword v44, v[24:25], off
	global_load_dword v45, v[26:27], off
	global_load_dword v46, v[28:29], off
	global_load_dword v47, v[30:31], off
	v_add_u32_e32 v48, 0, v22
	v_lshlrev_b32_e32 v22, 2, v1
	v_or_b32_e32 v7, 0x900, v0
	v_lshl_add_u64 v[24:25], v[20:21], 0, v[22:23]
	v_lshlrev_b32_e32 v22, 2, v7
	v_or_b32_e32 v9, 0xa00, v0
	v_lshl_add_u64 v[26:27], v[20:21], 0, v[22:23]
	;; [unrolled: 3-line block ×4, first 2 shown]
	v_add_u32_e32 v49, 0, v22
	v_lshlrev_b32_e32 v22, 2, v13
	v_or_b32_e32 v15, 0xd00, v0
	v_lshl_add_u64 v[32:33], v[20:21], 0, v[22:23]
	v_lshlrev_b32_e32 v22, 2, v15
	v_or_b32_e32 v17, 0xe00, v0
	v_lshl_add_u64 v[34:35], v[20:21], 0, v[22:23]
	;; [unrolled: 3-line block ×3, first 2 shown]
	v_lshlrev_b32_e32 v22, 2, v19
	v_lshl_add_u64 v[20:21], v[20:21], 0, v[22:23]
	global_load_dword v50, v[24:25], off
	global_load_dword v51, v[26:27], off
	;; [unrolled: 1-line block ×7, first 2 shown]
	v_or_b32_e32 v6, 0x100, v0
	global_load_dword v20, v[20:21], off
	v_or_b32_e32 v18, 0x200, v0
	v_add_u32_e32 v21, 0, v22
	s_waitcnt vmcnt(14)
	ds_write2st64_b32 v38, v40, v41 offset1:4
	s_waitcnt vmcnt(12)
	ds_write_b32 v39, v43
	s_waitcnt vmcnt(11)
	ds_write2st64_b32 v38, v42, v44 offset0:8 offset1:16
	s_waitcnt vmcnt(9)
	ds_write2st64_b32 v38, v45, v46 offset0:20 offset1:24
	s_waitcnt vmcnt(8)
	ds_write_b32 v48, v47
	s_waitcnt vmcnt(6)
	ds_write2st64_b32 v38, v50, v51 offset0:32 offset1:36
	s_waitcnt vmcnt(4)
	ds_write_b32 v49, v53
	s_waitcnt vmcnt(3)
	ds_write2st64_b32 v38, v52, v54 offset0:40 offset1:48
	s_waitcnt vmcnt(1)
	ds_write2st64_b32 v38, v55, v56 offset0:52 offset1:56
	s_waitcnt vmcnt(0)
	ds_write_b32 v21, v20
.LBB0_13:
	s_or_b64 exec, exec, s[0:1]
	v_lshlrev_b32_e32 v21, 2, v0
	v_add_u32_e32 v20, 0, v21
	s_load_dwordx2 s[2:3], s[2:3], 0x0
	s_waitcnt lgkmcnt(0)
	s_barrier
	ds_read2st64_b32 v[22:23], v20 offset1:4
	ds_read2st64_b32 v[24:25], v20 offset0:8 offset1:12
	ds_read2st64_b32 v[26:27], v20 offset0:16 offset1:20
	;; [unrolled: 1-line block ×7, first 2 shown]
	s_waitcnt lgkmcnt(4)
	v_pk_add_f16 v28, v22, v28 neg_lo:[0,1] neg_hi:[0,1]
	v_pk_add_f16 v29, v23, v29 neg_lo:[0,1] neg_hi:[0,1]
	s_waitcnt lgkmcnt(2)
	v_pk_add_f16 v32, v26, v32 neg_lo:[0,1] neg_hi:[0,1]
	s_waitcnt lgkmcnt(1)
	v_pk_add_f16 v34, v24, v34 neg_lo:[0,1] neg_hi:[0,1]
	v_pk_add_f16 v35, v25, v35 neg_lo:[0,1] neg_hi:[0,1]
	s_waitcnt lgkmcnt(0)
	v_pk_add_f16 v36, v30, v36 neg_lo:[0,1] neg_hi:[0,1]
	v_pk_add_f16 v33, v27, v33 neg_lo:[0,1] neg_hi:[0,1]
	;; [unrolled: 1-line block ×3, first 2 shown]
	v_lshrrev_b32_e32 v40, 16, v28
	v_lshrrev_b32_e32 v42, 16, v34
	v_lshrrev_b32_e32 v44, 16, v29
	v_lshrrev_b32_e32 v46, 16, v35
	v_pk_fma_f16 v26, v26, 2.0, v32 op_sel_hi:[1,0,1] neg_lo:[0,0,1] neg_hi:[0,0,1]
	v_pk_fma_f16 v30, v30, 2.0, v36 op_sel_hi:[1,0,1] neg_lo:[0,0,1] neg_hi:[0,0,1]
	v_pk_fma_f16 v27, v27, 2.0, v33 op_sel_hi:[1,0,1] neg_lo:[0,0,1] neg_hi:[0,0,1]
	v_pk_fma_f16 v31, v31, 2.0, v37 op_sel_hi:[1,0,1] neg_lo:[0,0,1] neg_hi:[0,0,1]
	v_add_f16_sdwa v39, v28, v32 dst_sel:DWORD dst_unused:UNUSED_PAD src0_sel:DWORD src1_sel:WORD_1
	v_sub_f16_e32 v32, v40, v32
	v_add_f16_sdwa v41, v34, v36 dst_sel:DWORD dst_unused:UNUSED_PAD src0_sel:DWORD src1_sel:WORD_1
	v_sub_f16_e32 v36, v42, v36
	v_add_f16_sdwa v43, v29, v33 dst_sel:DWORD dst_unused:UNUSED_PAD src0_sel:DWORD src1_sel:WORD_1
	v_sub_f16_e32 v33, v44, v33
	v_add_f16_sdwa v45, v35, v37 dst_sel:DWORD dst_unused:UNUSED_PAD src0_sel:DWORD src1_sel:WORD_1
	v_sub_f16_e32 v37, v46, v37
	s_movk_i32 s1, 0x39a8
	v_pk_fma_f16 v22, v22, 2.0, v28 op_sel_hi:[1,0,1] neg_lo:[0,0,1] neg_hi:[0,0,1]
	v_pk_fma_f16 v24, v24, 2.0, v34 op_sel_hi:[1,0,1] neg_lo:[0,0,1] neg_hi:[0,0,1]
	;; [unrolled: 1-line block ×4, first 2 shown]
	v_fma_f16 v28, v28, 2.0, -v39
	v_fma_f16 v40, v40, 2.0, -v32
	;; [unrolled: 1-line block ×8, first 2 shown]
	s_mov_b32 s0, 0xb9a8
	v_fma_f16 v49, v41, s1, v39
	v_fma_f16 v50, v36, s1, v32
	v_pk_add_f16 v26, v22, v26 neg_lo:[0,1] neg_hi:[0,1]
	v_pk_add_f16 v27, v23, v27 neg_lo:[0,1] neg_hi:[0,1]
	v_fma_f16 v47, v34, s0, v28
	v_fma_f16 v48, v42, s0, v40
	;; [unrolled: 1-line block ×6, first 2 shown]
	v_pk_add_f16 v30, v24, v30 neg_lo:[0,1] neg_hi:[0,1]
	v_pk_add_f16 v31, v25, v31 neg_lo:[0,1] neg_hi:[0,1]
	v_fma_f16 v42, v42, s1, v47
	v_fma_f16 v34, v34, s0, v48
	v_lshrrev_b32_e32 v48, 16, v26
	v_fma_f16 v46, v46, s1, v49
	v_fma_f16 v35, v35, s0, v50
	v_lshrrev_b32_e32 v50, 16, v27
	v_pk_fma_f16 v24, v24, 2.0, v30 op_sel_hi:[1,0,1] neg_lo:[0,0,1] neg_hi:[0,0,1]
	v_pk_fma_f16 v25, v25, 2.0, v31 op_sel_hi:[1,0,1] neg_lo:[0,0,1] neg_hi:[0,0,1]
	v_fma_f16 v28, v28, 2.0, -v42
	v_fma_f16 v40, v40, 2.0, -v34
	v_add_f16_sdwa v47, v26, v30 dst_sel:DWORD dst_unused:UNUSED_PAD src0_sel:DWORD src1_sel:WORD_1
	v_sub_f16_e32 v30, v48, v30
	v_fma_f16 v29, v29, 2.0, -v46
	v_fma_f16 v44, v44, 2.0, -v35
	v_add_f16_sdwa v49, v27, v31 dst_sel:DWORD dst_unused:UNUSED_PAD src0_sel:DWORD src1_sel:WORD_1
	v_sub_f16_e32 v31, v50, v31
	v_fma_f16 v51, v45, s1, v43
	v_fma_f16 v52, v37, s1, v33
	s_mov_b32 s10, 0xbb64
	v_pk_fma_f16 v22, v22, 2.0, v26 op_sel_hi:[1,0,1] neg_lo:[0,0,1] neg_hi:[0,0,1]
	v_pk_fma_f16 v23, v23, 2.0, v27 op_sel_hi:[1,0,1] neg_lo:[0,0,1] neg_hi:[0,0,1]
	v_fma_f16 v26, v26, 2.0, -v47
	v_fma_f16 v48, v48, 2.0, -v30
	;; [unrolled: 1-line block ×4, first 2 shown]
	v_fma_f16 v37, v37, s1, v51
	v_fma_f16 v45, v45, s0, v52
	;; [unrolled: 1-line block ×4, first 2 shown]
	s_movk_i32 s4, 0x361f
	s_mov_b32 s5, 0xb61f
	v_pk_add_f16 v24, v22, v24 neg_lo:[0,1] neg_hi:[0,1]
	v_fma_f16 v39, v39, 2.0, -v36
	v_fma_f16 v32, v32, 2.0, -v41
	v_pk_add_f16 v25, v23, v25 neg_lo:[0,1] neg_hi:[0,1]
	v_fma_f16 v43, v43, 2.0, -v37
	v_fma_f16 v33, v33, 2.0, -v45
	v_fma_f16 v44, v44, s4, v51
	v_fma_f16 v29, v29, s5, v52
	;; [unrolled: 1-line block ×4, first 2 shown]
	v_pk_fma_f16 v22, v22, 2.0, v24 op_sel_hi:[1,0,1] neg_lo:[0,0,1] neg_hi:[0,0,1]
	v_pk_fma_f16 v23, v23, 2.0, v25 op_sel_hi:[1,0,1] neg_lo:[0,0,1] neg_hi:[0,0,1]
	v_fma_f16 v50, v50, s1, v51
	v_fma_f16 v27, v27, s0, v52
	;; [unrolled: 1-line block ×4, first 2 shown]
	s_movk_i32 s11, 0x3b64
	v_fma_f16 v53, v46, s4, v42
	v_fma_f16 v54, v35, s4, v34
	v_pk_add_f16 v23, v22, v23 neg_lo:[0,1] neg_hi:[0,1]
	v_fma_f16 v28, v28, 2.0, -v44
	v_fma_f16 v40, v40, 2.0, -v29
	v_fma_f16 v33, v33, s11, v51
	v_fma_f16 v43, v43, s10, v52
	v_lshrrev_b32_e32 v52, 16, v24
	v_fma_f16 v35, v35, s11, v53
	v_fma_f16 v46, v46, s10, v54
	;; [unrolled: 1-line block ×4, first 2 shown]
	v_mad_u32_u24 v38, v0, 60, v20
	v_pk_fma_f16 v22, v22, 2.0, v23 op_sel_hi:[1,0,1] neg_lo:[0,0,1] neg_hi:[0,0,1]
	v_fma_f16 v26, v26, 2.0, -v50
	v_fma_f16 v48, v48, 2.0, -v27
	;; [unrolled: 1-line block ×4, first 2 shown]
	v_add_f16_sdwa v51, v24, v25 dst_sel:DWORD dst_unused:UNUSED_PAD src0_sel:DWORD src1_sel:WORD_1
	v_sub_f16_e32 v25, v52, v25
	v_fma_f16 v31, v31, s1, v53
	v_fma_f16 v49, v49, s0, v54
	;; [unrolled: 1-line block ×4, first 2 shown]
	v_pack_b32_f16 v28, v28, v40
	v_fma_f16 v24, v24, 2.0, -v51
	v_fma_f16 v52, v52, 2.0, -v25
	;; [unrolled: 1-line block ×4, first 2 shown]
	v_fma_f16 v45, v45, s4, v53
	v_fma_f16 v37, v37, s5, v54
	s_barrier
	ds_write2_b32 v38, v22, v28 offset1:1
	v_pack_b32_f16 v22, v39, v32
	v_pack_b32_f16 v26, v26, v48
	v_fma_f16 v47, v47, 2.0, -v31
	v_fma_f16 v30, v30, 2.0, -v49
	;; [unrolled: 1-line block ×4, first 2 shown]
	ds_write2_b32 v38, v26, v22 offset0:2 offset1:3
	v_pack_b32_f16 v22, v24, v52
	v_pack_b32_f16 v24, v42, v34
	ds_write2_b32 v38, v22, v24 offset0:4 offset1:5
	v_pack_b32_f16 v22, v36, v41
	v_pack_b32_f16 v24, v47, v30
	ds_write2_b32 v38, v24, v22 offset0:6 offset1:7
	v_pack_b32_f16 v22, v44, v29
	ds_write2_b32 v38, v23, v22 offset0:8 offset1:9
	v_pack_b32_f16 v22, v33, v43
	v_pack_b32_f16 v23, v50, v27
	ds_write2_b32 v38, v23, v22 offset0:10 offset1:11
	v_pack_b32_f16 v22, v51, v25
	;; [unrolled: 3-line block ×3, first 2 shown]
	v_pack_b32_f16 v23, v31, v49
	ds_write2_b32 v38, v23, v22 offset0:14 offset1:15
	v_and_b32_e32 v22, 15, v0
	v_mul_u32_u24_e32 v22, 15, v22
	v_lshlrev_b32_e32 v37, 2, v22
	s_waitcnt lgkmcnt(0)
	s_barrier
	global_load_dwordx4 v[22:25], v37, s[8:9]
	global_load_dwordx4 v[26:29], v37, s[8:9] offset:16
	global_load_dwordx4 v[30:33], v37, s[8:9] offset:32
	global_load_dwordx3 v[34:36], v37, s[8:9] offset:48
	ds_read2st64_b32 v[38:39], v20 offset0:16 offset1:20
	ds_read2st64_b32 v[40:41], v20 offset0:24 offset1:28
	ds_read2st64_b32 v[42:43], v20 offset1:4
	ds_read2st64_b32 v[44:45], v20 offset0:8 offset1:12
	ds_read2st64_b32 v[46:47], v20 offset0:32 offset1:36
	s_waitcnt lgkmcnt(4)
	v_lshrrev_b32_e32 v37, 16, v39
	s_waitcnt lgkmcnt(3)
	v_lshrrev_b32_e32 v48, 16, v40
	s_waitcnt lgkmcnt(2)
	v_lshrrev_b32_e32 v50, 16, v43
	v_lshrrev_b32_e32 v49, 16, v41
	s_waitcnt lgkmcnt(0)
	v_lshrrev_b32_e32 v53, 16, v47
	s_movk_i32 s12, 0xf0f
	v_lshl_add_u32 v1, v1, 2, 0
	v_sub_u32_e32 v21, 0, v21
	s_waitcnt vmcnt(3)
	v_mul_f16_sdwa v51, v22, v50 dst_sel:DWORD dst_unused:UNUSED_PAD src0_sel:WORD_1 src1_sel:DWORD
	v_fma_f16 v51, v22, v43, v51
	v_mul_f16_sdwa v43, v22, v43 dst_sel:DWORD dst_unused:UNUSED_PAD src0_sel:WORD_1 src1_sel:DWORD
	v_fma_f16 v43, v22, v50, -v43
	v_lshrrev_b32_e32 v22, 16, v44
	v_mul_f16_sdwa v50, v23, v22 dst_sel:DWORD dst_unused:UNUSED_PAD src0_sel:WORD_1 src1_sel:DWORD
	v_fma_f16 v50, v23, v44, v50
	v_mul_f16_sdwa v44, v23, v44 dst_sel:DWORD dst_unused:UNUSED_PAD src0_sel:WORD_1 src1_sel:DWORD
	v_fma_f16 v44, v23, v22, -v44
	v_lshrrev_b32_e32 v22, 16, v45
	;; [unrolled: 5-line block ×3, first 2 shown]
	v_mul_f16_sdwa v23, v25, v38 dst_sel:DWORD dst_unused:UNUSED_PAD src0_sel:WORD_1 src1_sel:DWORD
	v_fma_f16 v45, v25, v22, -v23
	v_mul_f16_sdwa v22, v25, v22 dst_sel:DWORD dst_unused:UNUSED_PAD src0_sel:WORD_1 src1_sel:DWORD
	v_fma_f16 v25, v25, v38, v22
	s_waitcnt vmcnt(2)
	v_mul_f16_sdwa v22, v37, v26 dst_sel:DWORD dst_unused:UNUSED_PAD src0_sel:DWORD src1_sel:WORD_1
	v_fma_f16 v54, v39, v26, v22
	v_mul_f16_sdwa v22, v39, v26 dst_sel:DWORD dst_unused:UNUSED_PAD src0_sel:DWORD src1_sel:WORD_1
	v_fma_f16 v26, v37, v26, -v22
	v_mul_f16_sdwa v22, v48, v27 dst_sel:DWORD dst_unused:UNUSED_PAD src0_sel:DWORD src1_sel:WORD_1
	v_fma_f16 v37, v40, v27, v22
	v_mul_f16_sdwa v22, v40, v27 dst_sel:DWORD dst_unused:UNUSED_PAD src0_sel:DWORD src1_sel:WORD_1
	v_fma_f16 v27, v48, v27, -v22
	v_mul_f16_sdwa v22, v49, v28 dst_sel:DWORD dst_unused:UNUSED_PAD src0_sel:DWORD src1_sel:WORD_1
	v_fma_f16 v39, v41, v28, v22
	ds_read2st64_b32 v[22:23], v20 offset0:40 offset1:44
	v_mul_f16_sdwa v40, v41, v28 dst_sel:DWORD dst_unused:UNUSED_PAD src0_sel:DWORD src1_sel:WORD_1
	v_lshrrev_b32_e32 v38, 16, v46
	v_fma_f16 v28, v49, v28, -v40
	v_mul_f16_sdwa v40, v46, v29 dst_sel:DWORD dst_unused:UNUSED_PAD src0_sel:DWORD src1_sel:WORD_1
	v_fma_f16 v40, v38, v29, -v40
	v_mul_f16_sdwa v38, v38, v29 dst_sel:DWORD dst_unused:UNUSED_PAD src0_sel:DWORD src1_sel:WORD_1
	v_fma_f16 v29, v46, v29, v38
	s_waitcnt vmcnt(1)
	v_mul_f16_sdwa v46, v53, v30 dst_sel:DWORD dst_unused:UNUSED_PAD src0_sel:DWORD src1_sel:WORD_1
	s_waitcnt lgkmcnt(0)
	v_lshrrev_b32_e32 v38, 16, v22
	v_fma_f16 v46, v47, v30, v46
	v_mul_f16_sdwa v47, v47, v30 dst_sel:DWORD dst_unused:UNUSED_PAD src0_sel:DWORD src1_sel:WORD_1
	v_fma_f16 v30, v53, v30, -v47
	v_mul_f16_sdwa v47, v38, v31 dst_sel:DWORD dst_unused:UNUSED_PAD src0_sel:DWORD src1_sel:WORD_1
	v_lshrrev_b32_e32 v41, 16, v23
	v_fma_f16 v47, v22, v31, v47
	v_mul_f16_sdwa v22, v22, v31 dst_sel:DWORD dst_unused:UNUSED_PAD src0_sel:DWORD src1_sel:WORD_1
	v_fma_f16 v31, v38, v31, -v22
	v_mul_f16_sdwa v22, v41, v32 dst_sel:DWORD dst_unused:UNUSED_PAD src0_sel:DWORD src1_sel:WORD_1
	v_fma_f16 v38, v23, v32, v22
	v_mul_f16_sdwa v48, v23, v32 dst_sel:DWORD dst_unused:UNUSED_PAD src0_sel:DWORD src1_sel:WORD_1
	ds_read2st64_b32 v[22:23], v20 offset0:48 offset1:52
	v_fma_f16 v32, v41, v32, -v48
	v_sub_f16_e32 v29, v42, v29
	v_sub_f16_e32 v47, v50, v47
	;; [unrolled: 1-line block ×3, first 2 shown]
	s_waitcnt lgkmcnt(0)
	v_lshrrev_b32_e32 v41, 16, v22
	v_mul_f16_sdwa v48, v22, v33 dst_sel:DWORD dst_unused:UNUSED_PAD src0_sel:DWORD src1_sel:WORD_1
	v_fma_f16 v48, v41, v33, -v48
	v_mul_f16_sdwa v41, v41, v33 dst_sel:DWORD dst_unused:UNUSED_PAD src0_sel:DWORD src1_sel:WORD_1
	v_fma_f16 v33, v22, v33, v41
	v_lshrrev_b32_e32 v41, 16, v23
	s_waitcnt vmcnt(0)
	v_mul_f16_sdwa v22, v41, v34 dst_sel:DWORD dst_unused:UNUSED_PAD src0_sel:DWORD src1_sel:WORD_1
	v_fma_f16 v49, v23, v34, v22
	v_mul_f16_sdwa v53, v23, v34 dst_sel:DWORD dst_unused:UNUSED_PAD src0_sel:DWORD src1_sel:WORD_1
	ds_read2st64_b32 v[22:23], v20 offset0:56 offset1:60
	v_fma_f16 v34, v41, v34, -v53
	v_sub_f16_e32 v48, v45, v48
	v_sub_f16_e32 v33, v25, v33
	v_fma_f16 v45, v45, 2.0, -v48
	s_waitcnt lgkmcnt(0)
	v_lshrrev_b32_e32 v41, 16, v22
	v_mul_f16_sdwa v53, v22, v35 dst_sel:DWORD dst_unused:UNUSED_PAD src0_sel:DWORD src1_sel:WORD_1
	v_fma_f16 v53, v41, v35, -v53
	v_mul_f16_sdwa v41, v41, v35 dst_sel:DWORD dst_unused:UNUSED_PAD src0_sel:DWORD src1_sel:WORD_1
	v_fma_f16 v22, v22, v35, v41
	v_lshrrev_b32_e32 v35, 16, v23
	v_mul_f16_sdwa v41, v35, v36 dst_sel:DWORD dst_unused:UNUSED_PAD src0_sel:DWORD src1_sel:WORD_1
	v_fma_f16 v41, v23, v36, v41
	v_mul_f16_sdwa v23, v23, v36 dst_sel:DWORD dst_unused:UNUSED_PAD src0_sel:DWORD src1_sel:WORD_1
	v_fma_f16 v23, v35, v36, -v23
	v_lshrrev_b32_e32 v36, 16, v42
	v_sub_f16_e32 v53, v27, v53
	v_sub_f16_e32 v40, v36, v40
	;; [unrolled: 1-line block ×3, first 2 shown]
	v_fma_f16 v27, v27, 2.0, -v53
	v_add_f16_e32 v48, v29, v48
	v_add_f16_e32 v53, v47, v53
	v_fma_f16 v42, v42, 2.0, -v29
	v_fma_f16 v25, v25, 2.0, -v33
	;; [unrolled: 1-line block ×4, first 2 shown]
	v_sub_f16_e32 v33, v40, v33
	v_fma_f16 v29, v29, 2.0, -v48
	v_sub_f16_e32 v22, v31, v22
	v_fma_f16 v47, v47, 2.0, -v53
	v_fma_f16 v36, v36, 2.0, -v40
	;; [unrolled: 1-line block ×5, first 2 shown]
	v_fma_f16 v55, v47, s0, v29
	v_sub_f16_e32 v46, v51, v46
	v_sub_f16_e32 v34, v26, v34
	;; [unrolled: 1-line block ×4, first 2 shown]
	v_fma_f16 v55, v31, s1, v55
	v_fma_f16 v31, v31, s0, v40
	v_sub_f16_e32 v30, v43, v30
	v_sub_f16_e32 v49, v54, v49
	v_fma_f16 v26, v26, 2.0, -v34
	v_sub_f16_e32 v32, v24, v32
	v_sub_f16_e32 v41, v39, v41
	v_fma_f16 v28, v28, 2.0, -v23
	v_add_f16_e32 v34, v46, v34
	v_add_f16_e32 v23, v38, v23
	v_fma_f16 v31, v47, s0, v31
	v_fma_f16 v47, v53, s1, v48
	v_fma_f16 v51, v51, 2.0, -v46
	v_fma_f16 v54, v54, 2.0, -v49
	;; [unrolled: 1-line block ×5, first 2 shown]
	v_sub_f16_e32 v49, v30, v49
	v_fma_f16 v46, v46, 2.0, -v34
	v_sub_f16_e32 v41, v32, v41
	v_fma_f16 v38, v38, 2.0, -v23
	v_fma_f16 v47, v22, s1, v47
	v_fma_f16 v22, v22, s1, v33
	v_fma_f16 v43, v43, 2.0, -v30
	v_sub_f16_e32 v54, v51, v54
	v_fma_f16 v30, v30, 2.0, -v49
	v_sub_f16_e32 v28, v24, v28
	v_fma_f16 v32, v32, 2.0, -v41
	v_fma_f16 v22, v53, s0, v22
	v_fma_f16 v53, v38, s0, v46
	v_sub_f16_e32 v25, v42, v25
	v_sub_f16_e32 v37, v50, v37
	;; [unrolled: 1-line block ×3, first 2 shown]
	v_fma_f16 v24, v24, 2.0, -v28
	v_fma_f16 v53, v32, s1, v53
	v_fma_f16 v32, v32, s0, v30
	v_add_f16_e32 v28, v54, v28
	v_fma_f16 v42, v42, 2.0, -v25
	v_fma_f16 v50, v50, 2.0, -v37
	;; [unrolled: 1-line block ×4, first 2 shown]
	v_fma_f16 v32, v38, s0, v32
	v_fma_f16 v38, v46, 2.0, -v53
	v_fma_f16 v46, v54, 2.0, -v28
	v_fma_f16 v54, v23, s1, v34
	v_sub_f16_e32 v50, v42, v50
	v_sub_f16_e32 v52, v51, v52
	v_fma_f16 v54, v41, s1, v54
	v_fma_f16 v41, v41, s1, v49
	v_fma_f16 v42, v42, 2.0, -v50
	v_fma_f16 v29, v29, 2.0, -v55
	;; [unrolled: 1-line block ×3, first 2 shown]
	v_fma_f16 v23, v23, s0, v41
	v_sub_f16_e32 v27, v44, v27
	v_fma_f16 v40, v40, 2.0, -v31
	v_fma_f16 v30, v30, 2.0, -v32
	;; [unrolled: 1-line block ×3, first 2 shown]
	v_sub_f16_e32 v49, v42, v51
	v_fma_f16 v51, v38, s10, v29
	v_sub_f16_e32 v45, v36, v45
	v_fma_f16 v44, v44, 2.0, -v27
	v_sub_f16_e32 v26, v43, v26
	v_add_f16_e32 v27, v25, v27
	v_fma_f16 v51, v30, s4, v51
	v_fma_f16 v30, v30, s10, v40
	v_sub_f16_e32 v37, v45, v37
	v_fma_f16 v25, v25, 2.0, -v27
	v_sub_f16_e32 v39, v26, v39
	v_fma_f16 v30, v38, s5, v30
	v_fma_f16 v36, v36, 2.0, -v45
	v_fma_f16 v43, v43, 2.0, -v26
	;; [unrolled: 1-line block ×5, first 2 shown]
	v_fma_f16 v40, v46, s0, v25
	v_fma_f16 v48, v48, 2.0, -v47
	v_fma_f16 v34, v34, 2.0, -v54
	v_fma_f16 v40, v26, s1, v40
	v_fma_f16 v26, v26, s0, v45
	v_fma_f16 v33, v33, 2.0, -v22
	v_fma_f16 v26, v46, s0, v26
	v_fma_f16 v46, v34, s5, v48
	v_sub_f16_e32 v44, v36, v44
	v_fma_f16 v46, v41, s11, v46
	v_fma_f16 v41, v41, s5, v33
	;; [unrolled: 1-line block ×3, first 2 shown]
	v_fma_f16 v41, v48, 2.0, -v46
	v_sub_f16_e32 v48, v44, v52
	v_fma_f16 v52, v53, s4, v55
	v_sub_f16_e32 v24, v43, v24
	v_fma_f16 v52, v32, s11, v52
	v_fma_f16 v32, v32, s4, v31
	v_fma_f16 v36, v36, 2.0, -v44
	v_fma_f16 v43, v43, 2.0, -v24
	v_fma_f16 v32, v53, s10, v32
	v_fma_f16 v53, v55, 2.0, -v52
	v_fma_f16 v55, v28, s1, v27
	v_lshlrev_b32_e32 v35, 4, v0
	v_sub_f16_e32 v43, v36, v43
	v_fma_f16 v55, v39, s1, v55
	v_fma_f16 v39, v39, s1, v37
	v_fma_f16 v42, v42, 2.0, -v49
	v_fma_f16 v36, v36, 2.0, -v43
	;; [unrolled: 1-line block ×3, first 2 shown]
	v_fma_f16 v28, v28, s0, v39
	v_fma_f16 v39, v54, s11, v47
	v_bitop3_b32 v35, v35, s12, v0 bitop3:0xc8
	v_fma_f16 v25, v25, 2.0, -v40
	v_fma_f16 v45, v45, 2.0, -v26
	;; [unrolled: 1-line block ×3, first 2 shown]
	v_add_f16_e32 v24, v50, v24
	v_fma_f16 v39, v23, s4, v39
	v_fma_f16 v23, v23, s11, v22
	v_lshl_add_u32 v35, v35, 2, 0
	v_pack_b32_f16 v36, v42, v36
	v_pack_b32_f16 v29, v29, v38
	v_fma_f16 v50, v50, 2.0, -v24
	v_fma_f16 v44, v44, 2.0, -v48
	;; [unrolled: 1-line block ×3, first 2 shown]
	v_fma_f16 v23, v54, s5, v23
	s_barrier
	ds_write2_b32 v35, v36, v29 offset1:16
	v_pack_b32_f16 v25, v25, v45
	v_pack_b32_f16 v29, v41, v33
	v_fma_f16 v27, v27, 2.0, -v55
	v_fma_f16 v37, v37, 2.0, -v28
	;; [unrolled: 1-line block ×4, first 2 shown]
	ds_write2_b32 v35, v25, v29 offset0:32 offset1:48
	v_pack_b32_f16 v25, v50, v44
	v_pack_b32_f16 v29, v53, v31
	ds_write2_b32 v35, v25, v29 offset0:64 offset1:80
	v_pack_b32_f16 v25, v27, v37
	v_pack_b32_f16 v22, v47, v22
	;; [unrolled: 3-line block ×6, first 2 shown]
	ds_write2_b32 v35, v22, v23 offset0:224 offset1:240
	v_mul_u32_u24_e32 v22, 15, v0
	v_lshlrev_b32_e32 v37, 2, v22
	s_waitcnt lgkmcnt(0)
	s_barrier
	global_load_dwordx4 v[22:25], v37, s[8:9] offset:960
	global_load_dwordx4 v[26:29], v37, s[8:9] offset:976
	;; [unrolled: 1-line block ×3, first 2 shown]
	global_load_dwordx3 v[34:36], v37, s[8:9] offset:1008
	ds_read2st64_b32 v[38:39], v20 offset0:24 offset1:28
	ds_read2st64_b32 v[40:41], v20 offset1:4
	ds_read2st64_b32 v[42:43], v20 offset0:8 offset1:12
	ds_read2st64_b32 v[44:45], v20 offset0:16 offset1:20
	ds_read_u16 v37, v20 offset:5122
	s_waitcnt lgkmcnt(4)
	v_lshrrev_b32_e32 v48, 16, v38
	s_waitcnt lgkmcnt(3)
	v_lshrrev_b32_e32 v50, 16, v41
	ds_read2st64_b32 v[46:47], v20 offset0:32 offset1:36
	v_lshrrev_b32_e32 v49, 16, v39
	s_waitcnt lgkmcnt(0)
	v_lshrrev_b32_e32 v53, 16, v47
	s_waitcnt vmcnt(3)
	v_mul_f16_sdwa v51, v22, v50 dst_sel:DWORD dst_unused:UNUSED_PAD src0_sel:WORD_1 src1_sel:DWORD
	v_fma_f16 v51, v22, v41, v51
	v_mul_f16_sdwa v41, v22, v41 dst_sel:DWORD dst_unused:UNUSED_PAD src0_sel:WORD_1 src1_sel:DWORD
	v_fma_f16 v41, v22, v50, -v41
	v_lshrrev_b32_e32 v22, 16, v42
	v_mul_f16_sdwa v50, v23, v22 dst_sel:DWORD dst_unused:UNUSED_PAD src0_sel:WORD_1 src1_sel:DWORD
	v_fma_f16 v50, v23, v42, v50
	v_mul_f16_sdwa v42, v23, v42 dst_sel:DWORD dst_unused:UNUSED_PAD src0_sel:WORD_1 src1_sel:DWORD
	v_fma_f16 v42, v23, v22, -v42
	v_lshrrev_b32_e32 v22, 16, v43
	;; [unrolled: 5-line block ×3, first 2 shown]
	v_mul_f16_sdwa v23, v25, v44 dst_sel:DWORD dst_unused:UNUSED_PAD src0_sel:WORD_1 src1_sel:DWORD
	v_fma_f16 v43, v25, v22, -v23
	v_mul_f16_sdwa v22, v25, v22 dst_sel:DWORD dst_unused:UNUSED_PAD src0_sel:WORD_1 src1_sel:DWORD
	v_fma_f16 v25, v25, v44, v22
	s_waitcnt vmcnt(2)
	v_mul_f16_sdwa v22, v37, v26 dst_sel:DWORD dst_unused:UNUSED_PAD src0_sel:DWORD src1_sel:WORD_1
	v_fma_f16 v54, v26, v45, v22
	v_mul_f16_sdwa v22, v26, v45 dst_sel:DWORD dst_unused:UNUSED_PAD src0_sel:WORD_1 src1_sel:DWORD
	v_fma_f16 v26, v37, v26, -v22
	v_mul_f16_sdwa v22, v48, v27 dst_sel:DWORD dst_unused:UNUSED_PAD src0_sel:DWORD src1_sel:WORD_1
	v_fma_f16 v37, v38, v27, v22
	v_mul_f16_sdwa v22, v38, v27 dst_sel:DWORD dst_unused:UNUSED_PAD src0_sel:DWORD src1_sel:WORD_1
	v_fma_f16 v27, v48, v27, -v22
	v_mul_f16_sdwa v22, v49, v28 dst_sel:DWORD dst_unused:UNUSED_PAD src0_sel:DWORD src1_sel:WORD_1
	v_fma_f16 v38, v39, v28, v22
	ds_read2st64_b32 v[22:23], v20 offset0:40 offset1:44
	v_mul_f16_sdwa v39, v39, v28 dst_sel:DWORD dst_unused:UNUSED_PAD src0_sel:DWORD src1_sel:WORD_1
	v_lshrrev_b32_e32 v44, 16, v46
	v_fma_f16 v28, v49, v28, -v39
	v_mul_f16_sdwa v39, v46, v29 dst_sel:DWORD dst_unused:UNUSED_PAD src0_sel:DWORD src1_sel:WORD_1
	v_fma_f16 v39, v44, v29, -v39
	v_mul_f16_sdwa v44, v44, v29 dst_sel:DWORD dst_unused:UNUSED_PAD src0_sel:DWORD src1_sel:WORD_1
	v_fma_f16 v29, v46, v29, v44
	s_waitcnt vmcnt(1)
	v_mul_f16_sdwa v46, v53, v30 dst_sel:DWORD dst_unused:UNUSED_PAD src0_sel:DWORD src1_sel:WORD_1
	s_waitcnt lgkmcnt(0)
	v_lshrrev_b32_e32 v44, 16, v22
	v_fma_f16 v46, v47, v30, v46
	v_mul_f16_sdwa v47, v47, v30 dst_sel:DWORD dst_unused:UNUSED_PAD src0_sel:DWORD src1_sel:WORD_1
	v_fma_f16 v30, v53, v30, -v47
	v_mul_f16_sdwa v47, v44, v31 dst_sel:DWORD dst_unused:UNUSED_PAD src0_sel:DWORD src1_sel:WORD_1
	v_lshrrev_b32_e32 v45, 16, v23
	v_fma_f16 v47, v22, v31, v47
	v_mul_f16_sdwa v22, v22, v31 dst_sel:DWORD dst_unused:UNUSED_PAD src0_sel:DWORD src1_sel:WORD_1
	v_fma_f16 v31, v44, v31, -v22
	v_mul_f16_sdwa v22, v45, v32 dst_sel:DWORD dst_unused:UNUSED_PAD src0_sel:DWORD src1_sel:WORD_1
	v_fma_f16 v44, v23, v32, v22
	v_mul_f16_sdwa v48, v23, v32 dst_sel:DWORD dst_unused:UNUSED_PAD src0_sel:DWORD src1_sel:WORD_1
	ds_read2st64_b32 v[22:23], v20 offset0:48 offset1:52
	v_fma_f16 v32, v45, v32, -v48
	v_sub_f16_e32 v29, v40, v29
	v_sub_f16_e32 v47, v50, v47
	;; [unrolled: 1-line block ×3, first 2 shown]
	s_waitcnt lgkmcnt(0)
	v_lshrrev_b32_e32 v45, 16, v22
	v_mul_f16_sdwa v48, v22, v33 dst_sel:DWORD dst_unused:UNUSED_PAD src0_sel:DWORD src1_sel:WORD_1
	v_fma_f16 v48, v45, v33, -v48
	v_mul_f16_sdwa v45, v45, v33 dst_sel:DWORD dst_unused:UNUSED_PAD src0_sel:DWORD src1_sel:WORD_1
	v_fma_f16 v33, v22, v33, v45
	v_lshrrev_b32_e32 v45, 16, v23
	s_waitcnt vmcnt(0)
	v_mul_f16_sdwa v22, v45, v34 dst_sel:DWORD dst_unused:UNUSED_PAD src0_sel:DWORD src1_sel:WORD_1
	v_fma_f16 v49, v23, v34, v22
	v_mul_f16_sdwa v53, v23, v34 dst_sel:DWORD dst_unused:UNUSED_PAD src0_sel:DWORD src1_sel:WORD_1
	ds_read2st64_b32 v[22:23], v20 offset0:56 offset1:60
	v_fma_f16 v34, v45, v34, -v53
	v_sub_f16_e32 v33, v25, v33
	v_fma_f16 v25, v25, 2.0, -v33
	v_fma_f16 v42, v42, 2.0, -v31
	s_waitcnt lgkmcnt(0)
	v_lshrrev_b32_e32 v45, 16, v22
	v_mul_f16_sdwa v53, v22, v35 dst_sel:DWORD dst_unused:UNUSED_PAD src0_sel:DWORD src1_sel:WORD_1
	v_fma_f16 v53, v45, v35, -v53
	v_mul_f16_sdwa v45, v45, v35 dst_sel:DWORD dst_unused:UNUSED_PAD src0_sel:DWORD src1_sel:WORD_1
	v_fma_f16 v22, v22, v35, v45
	v_lshrrev_b32_e32 v35, 16, v23
	v_mul_f16_sdwa v45, v35, v36 dst_sel:DWORD dst_unused:UNUSED_PAD src0_sel:DWORD src1_sel:WORD_1
	v_fma_f16 v45, v23, v36, v45
	v_mul_f16_sdwa v23, v23, v36 dst_sel:DWORD dst_unused:UNUSED_PAD src0_sel:DWORD src1_sel:WORD_1
	v_fma_f16 v23, v35, v36, -v23
	v_lshrrev_b32_e32 v35, 16, v40
	v_sub_f16_e32 v36, v35, v39
	v_sub_f16_e32 v22, v37, v22
	v_fma_f16 v39, v40, 2.0, -v29
	v_sub_f16_e32 v40, v43, v48
	v_fma_f16 v48, v50, 2.0, -v47
	;; [unrolled: 2-line block ×3, first 2 shown]
	v_sub_f16_e32 v33, v36, v33
	v_sub_f16_e32 v22, v31, v22
	v_fma_f16 v35, v35, 2.0, -v36
	v_fma_f16 v43, v43, 2.0, -v40
	;; [unrolled: 1-line block ×3, first 2 shown]
	v_sub_f16_e32 v30, v41, v30
	v_sub_f16_e32 v49, v54, v49
	;; [unrolled: 1-line block ×4, first 2 shown]
	v_add_f16_e32 v40, v29, v40
	v_fma_f16 v36, v36, 2.0, -v33
	v_add_f16_e32 v50, v47, v50
	v_fma_f16 v31, v31, 2.0, -v22
	v_sub_f16_e32 v46, v51, v46
	v_sub_f16_e32 v34, v26, v34
	v_fma_f16 v53, v54, 2.0, -v49
	v_sub_f16_e32 v44, v52, v44
	v_sub_f16_e32 v23, v28, v23
	v_fma_f16 v38, v38, 2.0, -v45
	v_fma_f16 v29, v29, 2.0, -v40
	;; [unrolled: 1-line block ×3, first 2 shown]
	v_sub_f16_e32 v49, v30, v49
	v_sub_f16_e32 v45, v32, v45
	v_fma_f16 v55, v31, s0, v36
	v_fma_f16 v41, v41, 2.0, -v30
	v_fma_f16 v26, v26, 2.0, -v34
	v_fma_f16 v24, v24, 2.0, -v32
	v_fma_f16 v28, v28, 2.0, -v23
	v_add_f16_e32 v34, v46, v34
	v_fma_f16 v30, v30, 2.0, -v49
	v_add_f16_e32 v23, v44, v23
	v_fma_f16 v32, v32, 2.0, -v45
	v_fma_f16 v54, v47, s0, v29
	v_fma_f16 v47, v47, s0, v55
	;; [unrolled: 1-line block ×3, first 2 shown]
	v_fma_f16 v51, v51, 2.0, -v46
	v_fma_f16 v52, v52, 2.0, -v44
	;; [unrolled: 1-line block ×4, first 2 shown]
	v_fma_f16 v31, v31, s1, v54
	v_fma_f16 v54, v50, s1, v40
	;; [unrolled: 1-line block ×4, first 2 shown]
	v_sub_f16_e32 v43, v35, v43
	v_sub_f16_e32 v37, v48, v37
	;; [unrolled: 1-line block ×4, first 2 shown]
	v_fma_f16 v22, v22, s1, v54
	v_fma_f16 v54, v44, s0, v46
	;; [unrolled: 1-line block ×3, first 2 shown]
	v_sub_f16_e32 v25, v39, v25
	v_sub_f16_e32 v27, v42, v27
	v_fma_f16 v48, v48, 2.0, -v37
	v_sub_f16_e32 v53, v51, v53
	v_sub_f16_e32 v28, v24, v28
	v_fma_f16 v52, v52, 2.0, -v38
	v_fma_f16 v36, v36, 2.0, -v47
	v_sub_f16_e32 v37, v43, v37
	v_fma_f16 v32, v32, s1, v54
	v_fma_f16 v30, v30, 2.0, -v44
	v_sub_f16_e32 v38, v26, v38
	v_fma_f16 v55, v45, s1, v49
	v_fma_f16 v35, v35, 2.0, -v43
	v_fma_f16 v42, v42, 2.0, -v27
	;; [unrolled: 1-line block ×5, first 2 shown]
	v_add_f16_e32 v27, v25, v27
	v_fma_f16 v43, v43, 2.0, -v37
	v_fma_f16 v46, v46, 2.0, -v32
	v_add_f16_e32 v28, v53, v28
	v_fma_f16 v26, v26, 2.0, -v38
	v_fma_f16 v54, v23, s1, v34
	v_fma_f16 v23, v23, s0, v55
	v_fma_f16 v55, v30, s10, v36
	v_fma_f16 v39, v39, 2.0, -v25
	v_fma_f16 v51, v51, 2.0, -v53
	;; [unrolled: 1-line block ×4, first 2 shown]
	v_fma_f16 v45, v45, s1, v54
	v_fma_f16 v54, v46, s10, v29
	;; [unrolled: 1-line block ×4, first 2 shown]
	v_fma_f16 v40, v40, 2.0, -v22
	v_fma_f16 v34, v34, 2.0, -v45
	v_fma_f16 v30, v30, s4, v54
	v_fma_f16 v54, v53, s0, v25
	;; [unrolled: 1-line block ×3, first 2 shown]
	v_sub_f16_e32 v48, v39, v48
	v_fma_f16 v33, v33, 2.0, -v50
	v_sub_f16_e32 v24, v41, v24
	v_fma_f16 v49, v49, 2.0, -v23
	v_fma_f16 v54, v26, s1, v54
	v_fma_f16 v26, v43, 2.0, -v53
	v_fma_f16 v43, v34, s5, v40
	v_fma_f16 v55, v49, s5, v33
	;; [unrolled: 1-line block ×3, first 2 shown]
	v_add_f16_e32 v49, v48, v24
	v_fma_f16 v39, v39, 2.0, -v48
	v_fma_f16 v41, v41, 2.0, -v24
	v_fma_f16 v24, v48, 2.0, -v49
	v_fma_f16 v48, v32, s4, v31
	v_sub_f16_e32 v42, v35, v42
	v_sub_f16_e32 v52, v51, v52
	v_fma_f16 v34, v34, s10, v55
	v_fma_f16 v55, v44, s4, v47
	;; [unrolled: 1-line block ×4, first 2 shown]
	v_fma_f16 v35, v35, 2.0, -v42
	v_fma_f16 v51, v51, 2.0, -v52
	v_fma_f16 v32, v32, s10, v55
	v_fma_f16 v55, v38, s1, v37
	;; [unrolled: 1-line block ×3, first 2 shown]
	v_sub_f16_e32 v51, v39, v51
	v_sub_f16_e32 v41, v35, v41
	v_fma_f16 v48, v28, s0, v55
	v_fma_f16 v55, v27, 2.0, -v38
	v_fma_f16 v27, v45, s11, v22
	v_fma_f16 v39, v39, 2.0, -v51
	v_fma_f16 v35, v35, 2.0, -v41
	v_fma_f16 v56, v23, s4, v27
	v_fma_f16 v29, v29, 2.0, -v30
	;; [unrolled: 3-line block ×3, first 2 shown]
	v_pack_b32_f16 v22, v39, v35
	v_fma_f16 v25, v25, 2.0, -v54
	v_fma_f16 v45, v45, s5, v28
	s_barrier
	ds_write_b32 v20, v22
	v_lshl_add_u32 v28, v6, 2, 0
	v_pack_b32_f16 v22, v29, v36
	v_fma_f16 v40, v40, 2.0, -v43
	v_fma_f16 v33, v33, 2.0, -v34
	v_sub_f16_e32 v52, v42, v52
	ds_write_b32 v28, v22
	v_lshl_add_u32 v27, v18, 2, 0
	v_pack_b32_f16 v22, v25, v26
	v_fma_f16 v42, v42, 2.0, -v52
	ds_write_b32 v27, v22
	v_lshl_add_u32 v26, v16, 2, 0
	v_pack_b32_f16 v22, v40, v33
	v_fma_f16 v31, v31, 2.0, -v44
	v_fma_f16 v47, v47, 2.0, -v32
	ds_write_b32 v26, v22
	v_lshl_add_u32 v25, v8, 2, 0
	v_pack_b32_f16 v22, v24, v42
	v_fma_f16 v37, v37, 2.0, -v48
	ds_write_b32 v25, v22
	v_lshl_add_u32 v24, v10, 2, 0
	v_pack_b32_f16 v22, v31, v47
	;; [unrolled: 4-line block ×3, first 2 shown]
	ds_write_b32 v23, v22
	v_lshl_add_u32 v22, v14, 2, 0
	v_pack_b32_f16 v29, v57, v50
	ds_write_b32 v22, v29
	v_pack_b32_f16 v29, v51, v41
	ds_write_b32 v1, v29
	v_lshl_add_u32 v1, v7, 2, 0
	v_pack_b32_f16 v7, v30, v46
	ds_write_b32 v1, v7
	v_lshl_add_u32 v1, v9, 2, 0
	;; [unrolled: 3-line block ×7, first 2 shown]
	v_pack_b32_f16 v7, v56, v45
	ds_write_b32 v1, v7
	s_waitcnt lgkmcnt(0)
	s_barrier
	ds_read_b32 v7, v20
	s_add_u32 s4, s8, 0x3fc0
	s_addc_u32 s5, s9, 0
	v_cmp_ne_u32_e64 s[0:1], 0, v0
                                        ; implicit-def: $vgpr9
                                        ; implicit-def: $vgpr1
	s_and_saveexec_b64 s[8:9], s[0:1]
	s_xor_b64 s[0:1], exec, s[8:9]
	s_cbranch_execz .LBB0_15
; %bb.14:
	v_mov_b32_e32 v1, 0
	v_lshl_add_u64 v[30:31], v[0:1], 2, s[4:5]
	global_load_dword v9, v[30:31], off
	ds_read_b32 v1, v21 offset:16384
	s_waitcnt lgkmcnt(0)
	v_add_f16_e32 v11, v1, v7
	v_add_f16_sdwa v13, v1, v7 dst_sel:DWORD dst_unused:UNUSED_PAD src0_sel:WORD_1 src1_sel:WORD_1
	v_sub_f16_e32 v15, v7, v1
	v_sub_f16_sdwa v1, v7, v1 dst_sel:DWORD dst_unused:UNUSED_PAD src0_sel:WORD_1 src1_sel:WORD_1
	v_mul_f16_e32 v7, 0.5, v13
	v_mul_f16_e32 v13, 0.5, v15
	;; [unrolled: 1-line block ×3, first 2 shown]
	s_waitcnt vmcnt(0)
	v_lshrrev_b32_e32 v15, 16, v9
	v_mul_f16_e32 v17, v15, v13
	v_fma_f16 v19, v7, v15, v1
	v_fma_f16 v1, v7, v15, -v1
	v_fma_f16 v15, v11, 0.5, v17
	v_fma_f16 v19, -v9, v13, v19
	v_fma_f16 v11, v11, 0.5, -v17
	v_fma_f16 v13, -v9, v13, v1
	v_fma_f16 v1, v9, v7, v15
	ds_write_b16 v20, v19 offset:2
	v_fma_f16 v9, -v9, v7, v11
	ds_write_b16 v21, v13 offset:16386
                                        ; implicit-def: $vgpr7
.LBB0_15:
	s_andn2_saveexec_b64 s[0:1], s[0:1]
	s_cbranch_execz .LBB0_17
; %bb.16:
	v_mov_b32_e32 v11, 0
	ds_write_b16 v20, v11 offset:2
	ds_write_b16 v21, v11 offset:16386
	ds_read_u16 v13, v11 offset:8194
	s_waitcnt lgkmcnt(3)
	v_add_f16_sdwa v1, v7, v7 dst_sel:DWORD dst_unused:UNUSED_PAD src0_sel:WORD_1 src1_sel:DWORD
	v_sub_f16_sdwa v9, v7, v7 dst_sel:DWORD dst_unused:UNUSED_PAD src0_sel:DWORD src1_sel:WORD_1
	s_waitcnt lgkmcnt(0)
	v_xor_b32_e32 v7, 0x8000, v13
	ds_write_b16 v11, v7 offset:8194
.LBB0_17:
	s_or_b64 exec, exec, s[0:1]
	s_waitcnt lgkmcnt(0)
	v_mov_b32_e32 v7, 0
	v_lshl_add_u64 v[30:31], v[6:7], 2, s[4:5]
	global_load_dword v6, v[30:31], off
	v_mov_b32_e32 v19, v7
	v_lshl_add_u64 v[18:19], v[18:19], 2, s[4:5]
	global_load_dword v18, v[18:19], off
	;; [unrolled: 3-line block ×3, first 2 shown]
	ds_write_b16 v20, v1
	ds_write_b16 v21, v9 offset:16384
	v_mov_b32_e32 v9, v7
	v_mov_b32_e32 v11, v7
	;; [unrolled: 1-line block ×4, first 2 shown]
	v_lshl_add_u64 v[8:9], v[8:9], 2, s[4:5]
	ds_read_b32 v1, v28
	ds_read_b32 v17, v21 offset:15360
	v_lshl_add_u64 v[10:11], v[10:11], 2, s[4:5]
	v_lshl_add_u64 v[12:13], v[12:13], 2, s[4:5]
	;; [unrolled: 1-line block ×3, first 2 shown]
	global_load_dword v19, v[8:9], off
	global_load_dword v20, v[10:11], off
	;; [unrolled: 1-line block ×4, first 2 shown]
	s_mov_b32 s0, 0xffff
	s_waitcnt lgkmcnt(0)
	v_pk_add_f16 v8, v1, v17 neg_lo:[0,1] neg_hi:[0,1]
	v_pk_add_f16 v1, v1, v17
	s_nop 0
	v_bfi_b32 v9, s0, v8, v1
	v_bfi_b32 v1, s0, v1, v8
	v_pk_mul_f16 v8, v9, 0.5 op_sel_hi:[1,0]
	v_pk_mul_f16 v1, v1, 0.5 op_sel_hi:[1,0]
	s_waitcnt vmcnt(6)
	v_pk_mul_f16 v10, v6, v8 op_sel_hi:[0,1]
	v_pk_fma_f16 v9, v6, v8, v1 op_sel:[1,0,0]
	v_pk_fma_f16 v11, v6, v8, v1 op_sel:[1,0,0] neg_lo:[1,0,0] neg_hi:[1,0,0]
	v_pk_fma_f16 v1, v6, v8, v1 op_sel:[1,0,0] neg_lo:[0,0,1] neg_hi:[0,0,1]
	v_pk_add_f16 v6, v9, v10 op_sel:[0,1] op_sel_hi:[1,0]
	v_pk_add_f16 v8, v9, v10 op_sel:[0,1] op_sel_hi:[1,0] neg_lo:[0,1] neg_hi:[0,1]
	v_pk_add_f16 v9, v11, v10 op_sel:[0,1] op_sel_hi:[1,0] neg_lo:[0,1] neg_hi:[0,1]
	;; [unrolled: 1-line block ×3, first 2 shown]
	v_bfi_b32 v6, s0, v6, v8
	v_bfi_b32 v1, s0, v9, v1
	ds_write_b32 v28, v6
	ds_write_b32 v21, v1 offset:15360
	ds_read_b32 v1, v27
	ds_read_b32 v6, v21 offset:14336
	s_waitcnt lgkmcnt(0)
	v_pk_add_f16 v8, v1, v6 neg_lo:[0,1] neg_hi:[0,1]
	v_pk_add_f16 v1, v1, v6
	s_nop 0
	v_bfi_b32 v6, s0, v8, v1
	v_bfi_b32 v1, s0, v1, v8
	v_pk_mul_f16 v6, v6, 0.5 op_sel_hi:[1,0]
	v_pk_mul_f16 v1, v1, 0.5 op_sel_hi:[1,0]
	s_waitcnt vmcnt(5)
	v_pk_mul_f16 v9, v18, v6 op_sel_hi:[0,1]
	v_pk_fma_f16 v8, v18, v6, v1 op_sel:[1,0,0]
	v_pk_fma_f16 v10, v18, v6, v1 op_sel:[1,0,0] neg_lo:[1,0,0] neg_hi:[1,0,0]
	v_pk_fma_f16 v1, v18, v6, v1 op_sel:[1,0,0] neg_lo:[0,0,1] neg_hi:[0,0,1]
	v_pk_add_f16 v6, v8, v9 op_sel:[0,1] op_sel_hi:[1,0]
	v_pk_add_f16 v8, v8, v9 op_sel:[0,1] op_sel_hi:[1,0] neg_lo:[0,1] neg_hi:[0,1]
	v_pk_add_f16 v10, v10, v9 op_sel:[0,1] op_sel_hi:[1,0] neg_lo:[0,1] neg_hi:[0,1]
	;; [unrolled: 1-line block ×3, first 2 shown]
	v_bfi_b32 v6, s0, v6, v8
	v_bfi_b32 v1, s0, v10, v1
	ds_write_b32 v27, v6
	ds_write_b32 v21, v1 offset:14336
	ds_read_b32 v1, v26
	ds_read_b32 v6, v21 offset:13312
	s_waitcnt lgkmcnt(0)
	v_pk_add_f16 v8, v1, v6 neg_lo:[0,1] neg_hi:[0,1]
	v_pk_add_f16 v1, v1, v6
	s_nop 0
	v_bfi_b32 v6, s0, v8, v1
	v_bfi_b32 v1, s0, v1, v8
	v_pk_mul_f16 v6, v6, 0.5 op_sel_hi:[1,0]
	v_pk_mul_f16 v8, v1, 0.5 op_sel_hi:[1,0]
	s_waitcnt vmcnt(4)
	v_pk_mul_f16 v9, v16, v6 op_sel:[1,0]
	v_pk_mul_f16 v6, v16, v6 op_sel_hi:[0,1]
	v_pk_fma_f16 v1, v1, 0.5, v9 op_sel_hi:[1,0,1]
	v_sub_f16_e32 v10, v8, v9
	v_sub_f16_sdwa v8, v9, v8 dst_sel:DWORD dst_unused:UNUSED_PAD src0_sel:WORD_1 src1_sel:WORD_1
	v_pk_add_f16 v9, v1, v6 op_sel:[0,1] op_sel_hi:[1,0]
	v_pk_add_f16 v1, v1, v6 op_sel:[0,1] op_sel_hi:[1,0] neg_lo:[0,1] neg_hi:[0,1]
	v_sub_f16_sdwa v10, v10, v6 dst_sel:DWORD dst_unused:UNUSED_PAD src0_sel:DWORD src1_sel:WORD_1
	v_sub_f16_e32 v6, v8, v6
	v_bfi_b32 v1, s0, v9, v1
	ds_write_b16 v21, v6 offset:13314
	ds_write_b32 v26, v1
	ds_write_b16 v21, v10 offset:13312
	ds_read_b32 v1, v25
	ds_read_b32 v6, v21 offset:12288
	s_waitcnt lgkmcnt(0)
	v_pk_add_f16 v8, v1, v6 neg_lo:[0,1] neg_hi:[0,1]
	v_pk_add_f16 v1, v1, v6
	s_nop 0
	v_bfi_b32 v6, s0, v8, v1
	v_bfi_b32 v1, s0, v1, v8
	v_pk_mul_f16 v6, v6, 0.5 op_sel_hi:[1,0]
	v_pk_mul_f16 v1, v1, 0.5 op_sel_hi:[1,0]
	s_waitcnt vmcnt(3)
	v_pk_mul_f16 v9, v19, v6 op_sel_hi:[0,1]
	v_pk_fma_f16 v8, v19, v6, v1 op_sel:[1,0,0]
	v_pk_fma_f16 v10, v19, v6, v1 op_sel:[1,0,0] neg_lo:[1,0,0] neg_hi:[1,0,0]
	v_pk_fma_f16 v1, v19, v6, v1 op_sel:[1,0,0] neg_lo:[0,0,1] neg_hi:[0,0,1]
	v_pk_add_f16 v6, v8, v9 op_sel:[0,1] op_sel_hi:[1,0]
	v_pk_add_f16 v8, v8, v9 op_sel:[0,1] op_sel_hi:[1,0] neg_lo:[0,1] neg_hi:[0,1]
	v_pk_add_f16 v10, v10, v9 op_sel:[0,1] op_sel_hi:[1,0] neg_lo:[0,1] neg_hi:[0,1]
	;; [unrolled: 1-line block ×3, first 2 shown]
	v_bfi_b32 v6, s0, v6, v8
	v_bfi_b32 v1, s0, v10, v1
	ds_write_b32 v25, v6
	ds_write_b32 v21, v1 offset:12288
	ds_read_b32 v1, v24
	ds_read_b32 v6, v21 offset:11264
	s_waitcnt lgkmcnt(0)
	v_pk_add_f16 v8, v1, v6 neg_lo:[0,1] neg_hi:[0,1]
	v_pk_add_f16 v1, v1, v6
	s_nop 0
	v_bfi_b32 v6, s0, v8, v1
	v_bfi_b32 v1, s0, v1, v8
	v_pk_mul_f16 v6, v6, 0.5 op_sel_hi:[1,0]
	v_pk_mul_f16 v8, v1, 0.5 op_sel_hi:[1,0]
	s_waitcnt vmcnt(2)
	v_pk_mul_f16 v9, v20, v6 op_sel:[1,0]
	v_pk_mul_f16 v6, v20, v6 op_sel_hi:[0,1]
	v_pk_fma_f16 v1, v1, 0.5, v9 op_sel_hi:[1,0,1]
	v_sub_f16_e32 v10, v8, v9
	v_sub_f16_sdwa v8, v9, v8 dst_sel:DWORD dst_unused:UNUSED_PAD src0_sel:WORD_1 src1_sel:WORD_1
	v_pk_add_f16 v9, v1, v6 op_sel:[0,1] op_sel_hi:[1,0]
	v_pk_add_f16 v1, v1, v6 op_sel:[0,1] op_sel_hi:[1,0] neg_lo:[0,1] neg_hi:[0,1]
	v_sub_f16_sdwa v10, v10, v6 dst_sel:DWORD dst_unused:UNUSED_PAD src0_sel:DWORD src1_sel:WORD_1
	v_sub_f16_e32 v6, v8, v6
	v_bfi_b32 v1, s0, v9, v1
	ds_write_b16 v21, v6 offset:11266
	ds_write_b32 v24, v1
	ds_write_b16 v21, v10 offset:11264
	ds_read_b32 v1, v23
	ds_read_b32 v6, v21 offset:10240
	s_waitcnt lgkmcnt(0)
	v_pk_add_f16 v8, v1, v6 neg_lo:[0,1] neg_hi:[0,1]
	v_pk_add_f16 v1, v1, v6
	s_nop 0
	v_bfi_b32 v6, s0, v8, v1
	v_bfi_b32 v1, s0, v1, v8
	v_pk_mul_f16 v6, v6, 0.5 op_sel_hi:[1,0]
	v_pk_mul_f16 v8, v1, 0.5 op_sel_hi:[1,0]
	s_waitcnt vmcnt(1)
	v_pk_mul_f16 v9, v29, v6 op_sel:[1,0]
	v_pk_mul_f16 v6, v29, v6 op_sel_hi:[0,1]
	v_pk_fma_f16 v1, v1, 0.5, v9 op_sel_hi:[1,0,1]
	v_sub_f16_e32 v10, v8, v9
	v_sub_f16_sdwa v8, v9, v8 dst_sel:DWORD dst_unused:UNUSED_PAD src0_sel:WORD_1 src1_sel:WORD_1
	v_pk_add_f16 v9, v1, v6 op_sel:[0,1] op_sel_hi:[1,0]
	v_pk_add_f16 v1, v1, v6 op_sel:[0,1] op_sel_hi:[1,0] neg_lo:[0,1] neg_hi:[0,1]
	v_sub_f16_sdwa v10, v10, v6 dst_sel:DWORD dst_unused:UNUSED_PAD src0_sel:DWORD src1_sel:WORD_1
	v_sub_f16_e32 v6, v8, v6
	v_bfi_b32 v1, s0, v9, v1
	ds_write_b16 v21, v6 offset:10242
	ds_write_b32 v23, v1
	ds_write_b16 v21, v10 offset:10240
	ds_read_b32 v1, v22
	ds_read_b32 v6, v21 offset:9216
	s_waitcnt lgkmcnt(0)
	v_pk_add_f16 v8, v1, v6 neg_lo:[0,1] neg_hi:[0,1]
	v_pk_add_f16 v1, v1, v6
	s_nop 0
	v_bfi_b32 v6, s0, v8, v1
	v_pk_mul_f16 v6, v6, 0.5 op_sel_hi:[1,0]
	v_bfi_b32 v1, s0, v1, v8
	s_waitcnt vmcnt(0)
	v_pk_mul_f16 v9, v30, v6 op_sel:[1,0]
	v_pk_mul_f16 v8, v1, 0.5 op_sel_hi:[1,0]
	v_pk_mul_f16 v6, v30, v6 op_sel_hi:[0,1]
	v_pk_fma_f16 v1, v1, 0.5, v9 op_sel_hi:[1,0,1]
	s_nop 0
	v_pk_add_f16 v10, v1, v6 op_sel:[0,1] op_sel_hi:[1,0]
	v_pk_add_f16 v1, v1, v6 op_sel:[0,1] op_sel_hi:[1,0] neg_lo:[0,1] neg_hi:[0,1]
	s_nop 0
	v_bfi_b32 v1, s0, v10, v1
	v_sub_f16_e32 v10, v8, v9
	v_sub_f16_sdwa v8, v9, v8 dst_sel:DWORD dst_unused:UNUSED_PAD src0_sel:WORD_1 src1_sel:WORD_1
	v_sub_f16_sdwa v10, v10, v6 dst_sel:DWORD dst_unused:UNUSED_PAD src0_sel:DWORD src1_sel:WORD_1
	v_sub_f16_e32 v6, v8, v6
	ds_write_b16 v21, v6 offset:9218
	ds_write_b32 v22, v1
	ds_write_b16 v21, v10 offset:9216
	s_waitcnt lgkmcnt(0)
	s_barrier
	s_and_saveexec_b64 s[0:1], vcc
	s_cbranch_execz .LBB0_20
; %bb.18:
	v_lshl_add_u32 v12, v0, 2, 0
	v_mul_lo_u32 v1, s3, v4
	v_mul_lo_u32 v6, s2, v5
	v_mad_u64_u32 v[4:5], s[0:1], s2, v4, 0
	ds_read2st64_b32 v[8:9], v12 offset1:4
	v_add3_u32 v5, v5, v6, v1
	v_lshl_add_u64 v[4:5], v[4:5], 2, s[6:7]
	v_mov_b32_e32 v1, v7
	v_lshl_add_u64 v[2:3], v[2:3], 2, v[4:5]
	v_lshl_add_u64 v[4:5], v[0:1], 2, v[2:3]
	s_waitcnt lgkmcnt(0)
	global_store_dword v[4:5], v8, off
	ds_read2st64_b32 v[4:5], v12 offset0:8 offset1:12
	v_add_u32_e32 v6, 0x100, v0
	v_lshl_add_u64 v[10:11], v[6:7], 2, v[2:3]
	v_add_u32_e32 v6, 0x200, v0
	global_store_dword v[10:11], v9, off
	v_lshl_add_u64 v[8:9], v[6:7], 2, v[2:3]
	s_waitcnt lgkmcnt(0)
	global_store_dword v[8:9], v4, off
	ds_read2st64_b32 v[8:9], v12 offset0:16 offset1:20
	v_add_u32_e32 v6, 0x300, v0
	v_lshl_add_u64 v[10:11], v[6:7], 2, v[2:3]
	v_add_u32_e32 v6, 0x400, v0
	global_store_dword v[10:11], v5, off
	;; [unrolled: 8-line block ×7, first 2 shown]
	v_lshl_add_u64 v[8:9], v[6:7], 2, v[2:3]
	v_add_u32_e32 v6, 0xf00, v0
	s_movk_i32 s0, 0xff
	v_lshl_add_u64 v[6:7], v[6:7], 2, v[2:3]
	v_cmp_eq_u32_e32 vcc, s0, v0
	s_waitcnt lgkmcnt(0)
	global_store_dword v[8:9], v4, off
	global_store_dword v[6:7], v5, off
	s_and_b64 exec, exec, vcc
	s_cbranch_execz .LBB0_20
; %bb.19:
	v_mov_b32_e32 v0, 0
	ds_read_b32 v4, v0 offset:16384
	v_add_co_u32_e32 v0, vcc, 0x4000, v2
	s_nop 1
	v_addc_co_u32_e32 v1, vcc, 0, v3, vcc
	s_waitcnt lgkmcnt(0)
	global_store_dword v[0:1], v4, off
.LBB0_20:
	s_endpgm
	.section	.rodata,"a",@progbits
	.p2align	6, 0x0
	.amdhsa_kernel fft_rtc_back_len4096_factors_16_16_16_wgs_256_tpt_256_halfLds_half_op_CI_CI_unitstride_sbrr_R2C_dirReg
		.amdhsa_group_segment_fixed_size 0
		.amdhsa_private_segment_fixed_size 0
		.amdhsa_kernarg_size 104
		.amdhsa_user_sgpr_count 2
		.amdhsa_user_sgpr_dispatch_ptr 0
		.amdhsa_user_sgpr_queue_ptr 0
		.amdhsa_user_sgpr_kernarg_segment_ptr 1
		.amdhsa_user_sgpr_dispatch_id 0
		.amdhsa_user_sgpr_kernarg_preload_length 0
		.amdhsa_user_sgpr_kernarg_preload_offset 0
		.amdhsa_user_sgpr_private_segment_size 0
		.amdhsa_uses_dynamic_stack 0
		.amdhsa_enable_private_segment 0
		.amdhsa_system_sgpr_workgroup_id_x 1
		.amdhsa_system_sgpr_workgroup_id_y 0
		.amdhsa_system_sgpr_workgroup_id_z 0
		.amdhsa_system_sgpr_workgroup_info 0
		.amdhsa_system_vgpr_workitem_id 0
		.amdhsa_next_free_vgpr 58
		.amdhsa_next_free_sgpr 28
		.amdhsa_accum_offset 60
		.amdhsa_reserve_vcc 1
		.amdhsa_float_round_mode_32 0
		.amdhsa_float_round_mode_16_64 0
		.amdhsa_float_denorm_mode_32 3
		.amdhsa_float_denorm_mode_16_64 3
		.amdhsa_dx10_clamp 1
		.amdhsa_ieee_mode 1
		.amdhsa_fp16_overflow 0
		.amdhsa_tg_split 0
		.amdhsa_exception_fp_ieee_invalid_op 0
		.amdhsa_exception_fp_denorm_src 0
		.amdhsa_exception_fp_ieee_div_zero 0
		.amdhsa_exception_fp_ieee_overflow 0
		.amdhsa_exception_fp_ieee_underflow 0
		.amdhsa_exception_fp_ieee_inexact 0
		.amdhsa_exception_int_div_zero 0
	.end_amdhsa_kernel
	.text
.Lfunc_end0:
	.size	fft_rtc_back_len4096_factors_16_16_16_wgs_256_tpt_256_halfLds_half_op_CI_CI_unitstride_sbrr_R2C_dirReg, .Lfunc_end0-fft_rtc_back_len4096_factors_16_16_16_wgs_256_tpt_256_halfLds_half_op_CI_CI_unitstride_sbrr_R2C_dirReg
                                        ; -- End function
	.section	.AMDGPU.csdata,"",@progbits
; Kernel info:
; codeLenInByte = 9520
; NumSgprs: 34
; NumVgprs: 58
; NumAgprs: 0
; TotalNumVgprs: 58
; ScratchSize: 0
; MemoryBound: 0
; FloatMode: 240
; IeeeMode: 1
; LDSByteSize: 0 bytes/workgroup (compile time only)
; SGPRBlocks: 4
; VGPRBlocks: 7
; NumSGPRsForWavesPerEU: 34
; NumVGPRsForWavesPerEU: 58
; AccumOffset: 60
; Occupancy: 8
; WaveLimiterHint : 1
; COMPUTE_PGM_RSRC2:SCRATCH_EN: 0
; COMPUTE_PGM_RSRC2:USER_SGPR: 2
; COMPUTE_PGM_RSRC2:TRAP_HANDLER: 0
; COMPUTE_PGM_RSRC2:TGID_X_EN: 1
; COMPUTE_PGM_RSRC2:TGID_Y_EN: 0
; COMPUTE_PGM_RSRC2:TGID_Z_EN: 0
; COMPUTE_PGM_RSRC2:TIDIG_COMP_CNT: 0
; COMPUTE_PGM_RSRC3_GFX90A:ACCUM_OFFSET: 14
; COMPUTE_PGM_RSRC3_GFX90A:TG_SPLIT: 0
	.text
	.p2alignl 6, 3212836864
	.fill 256, 4, 3212836864
	.type	__hip_cuid_11d0cd34bdab0d39,@object ; @__hip_cuid_11d0cd34bdab0d39
	.section	.bss,"aw",@nobits
	.globl	__hip_cuid_11d0cd34bdab0d39
__hip_cuid_11d0cd34bdab0d39:
	.byte	0                               ; 0x0
	.size	__hip_cuid_11d0cd34bdab0d39, 1

	.ident	"AMD clang version 19.0.0git (https://github.com/RadeonOpenCompute/llvm-project roc-6.4.0 25133 c7fe45cf4b819c5991fe208aaa96edf142730f1d)"
	.section	".note.GNU-stack","",@progbits
	.addrsig
	.addrsig_sym __hip_cuid_11d0cd34bdab0d39
	.amdgpu_metadata
---
amdhsa.kernels:
  - .agpr_count:     0
    .args:
      - .actual_access:  read_only
        .address_space:  global
        .offset:         0
        .size:           8
        .value_kind:     global_buffer
      - .offset:         8
        .size:           8
        .value_kind:     by_value
      - .actual_access:  read_only
        .address_space:  global
        .offset:         16
        .size:           8
        .value_kind:     global_buffer
      - .actual_access:  read_only
        .address_space:  global
        .offset:         24
        .size:           8
        .value_kind:     global_buffer
      - .actual_access:  read_only
        .address_space:  global
        .offset:         32
        .size:           8
        .value_kind:     global_buffer
      - .offset:         40
        .size:           8
        .value_kind:     by_value
      - .actual_access:  read_only
        .address_space:  global
        .offset:         48
        .size:           8
        .value_kind:     global_buffer
      - .actual_access:  read_only
        .address_space:  global
        .offset:         56
        .size:           8
        .value_kind:     global_buffer
      - .offset:         64
        .size:           4
        .value_kind:     by_value
      - .actual_access:  read_only
        .address_space:  global
        .offset:         72
        .size:           8
        .value_kind:     global_buffer
      - .actual_access:  read_only
        .address_space:  global
        .offset:         80
        .size:           8
        .value_kind:     global_buffer
      - .actual_access:  read_only
        .address_space:  global
        .offset:         88
        .size:           8
        .value_kind:     global_buffer
      - .actual_access:  write_only
        .address_space:  global
        .offset:         96
        .size:           8
        .value_kind:     global_buffer
    .group_segment_fixed_size: 0
    .kernarg_segment_align: 8
    .kernarg_segment_size: 104
    .language:       OpenCL C
    .language_version:
      - 2
      - 0
    .max_flat_workgroup_size: 256
    .name:           fft_rtc_back_len4096_factors_16_16_16_wgs_256_tpt_256_halfLds_half_op_CI_CI_unitstride_sbrr_R2C_dirReg
    .private_segment_fixed_size: 0
    .sgpr_count:     34
    .sgpr_spill_count: 0
    .symbol:         fft_rtc_back_len4096_factors_16_16_16_wgs_256_tpt_256_halfLds_half_op_CI_CI_unitstride_sbrr_R2C_dirReg.kd
    .uniform_work_group_size: 1
    .uses_dynamic_stack: false
    .vgpr_count:     58
    .vgpr_spill_count: 0
    .wavefront_size: 64
amdhsa.target:   amdgcn-amd-amdhsa--gfx950
amdhsa.version:
  - 1
  - 2
...

	.end_amdgpu_metadata
